;; amdgpu-corpus repo=ROCm/rocFFT kind=compiled arch=gfx906 opt=O3
	.text
	.amdgcn_target "amdgcn-amd-amdhsa--gfx906"
	.amdhsa_code_object_version 6
	.protected	fft_rtc_fwd_len1540_factors_11_2_7_5_2_wgs_154_tpt_154_halfLds_dp_op_CI_CI_unitstride_sbrr_dirReg ; -- Begin function fft_rtc_fwd_len1540_factors_11_2_7_5_2_wgs_154_tpt_154_halfLds_dp_op_CI_CI_unitstride_sbrr_dirReg
	.globl	fft_rtc_fwd_len1540_factors_11_2_7_5_2_wgs_154_tpt_154_halfLds_dp_op_CI_CI_unitstride_sbrr_dirReg
	.p2align	8
	.type	fft_rtc_fwd_len1540_factors_11_2_7_5_2_wgs_154_tpt_154_halfLds_dp_op_CI_CI_unitstride_sbrr_dirReg,@function
fft_rtc_fwd_len1540_factors_11_2_7_5_2_wgs_154_tpt_154_halfLds_dp_op_CI_CI_unitstride_sbrr_dirReg: ; @fft_rtc_fwd_len1540_factors_11_2_7_5_2_wgs_154_tpt_154_halfLds_dp_op_CI_CI_unitstride_sbrr_dirReg
; %bb.0:
	s_load_dwordx4 s[8:11], s[4:5], 0x58
	s_load_dwordx4 s[12:15], s[4:5], 0x0
	;; [unrolled: 1-line block ×3, first 2 shown]
	v_mul_u32_u24_e32 v1, 0x1aa, v0
	v_add_u32_sdwa v5, s6, v1 dst_sel:DWORD dst_unused:UNUSED_PAD src0_sel:DWORD src1_sel:WORD_1
	v_mov_b32_e32 v3, 0
	s_waitcnt lgkmcnt(0)
	v_cmp_lt_u64_e64 s[0:1], s[14:15], 2
	v_mov_b32_e32 v1, 0
	v_mov_b32_e32 v6, v3
	s_and_b64 vcc, exec, s[0:1]
	v_mov_b32_e32 v2, 0
	s_cbranch_vccnz .LBB0_8
; %bb.1:
	s_load_dwordx2 s[0:1], s[4:5], 0x10
	s_add_u32 s2, s18, 8
	s_addc_u32 s3, s19, 0
	s_add_u32 s6, s16, 8
	v_mov_b32_e32 v1, 0
	s_addc_u32 s7, s17, 0
	v_mov_b32_e32 v2, 0
	s_waitcnt lgkmcnt(0)
	s_add_u32 s20, s0, 8
	v_mov_b32_e32 v93, v2
	s_addc_u32 s21, s1, 0
	s_mov_b64 s[22:23], 1
	v_mov_b32_e32 v92, v1
.LBB0_2:                                ; =>This Inner Loop Header: Depth=1
	s_load_dwordx2 s[24:25], s[20:21], 0x0
                                        ; implicit-def: $vgpr94_vgpr95
	s_waitcnt lgkmcnt(0)
	v_or_b32_e32 v4, s25, v6
	v_cmp_ne_u64_e32 vcc, 0, v[3:4]
	s_and_saveexec_b64 s[0:1], vcc
	s_xor_b64 s[26:27], exec, s[0:1]
	s_cbranch_execz .LBB0_4
; %bb.3:                                ;   in Loop: Header=BB0_2 Depth=1
	v_cvt_f32_u32_e32 v4, s24
	v_cvt_f32_u32_e32 v7, s25
	s_sub_u32 s0, 0, s24
	s_subb_u32 s1, 0, s25
	v_mac_f32_e32 v4, 0x4f800000, v7
	v_rcp_f32_e32 v4, v4
	v_mul_f32_e32 v4, 0x5f7ffffc, v4
	v_mul_f32_e32 v7, 0x2f800000, v4
	v_trunc_f32_e32 v7, v7
	v_mac_f32_e32 v4, 0xcf800000, v7
	v_cvt_u32_f32_e32 v7, v7
	v_cvt_u32_f32_e32 v4, v4
	v_mul_lo_u32 v8, s0, v7
	v_mul_hi_u32 v9, s0, v4
	v_mul_lo_u32 v11, s1, v4
	v_mul_lo_u32 v10, s0, v4
	v_add_u32_e32 v8, v9, v8
	v_add_u32_e32 v8, v8, v11
	v_mul_hi_u32 v9, v4, v10
	v_mul_lo_u32 v11, v4, v8
	v_mul_hi_u32 v13, v4, v8
	v_mul_hi_u32 v12, v7, v10
	v_mul_lo_u32 v10, v7, v10
	v_mul_hi_u32 v14, v7, v8
	v_add_co_u32_e32 v9, vcc, v9, v11
	v_addc_co_u32_e32 v11, vcc, 0, v13, vcc
	v_mul_lo_u32 v8, v7, v8
	v_add_co_u32_e32 v9, vcc, v9, v10
	v_addc_co_u32_e32 v9, vcc, v11, v12, vcc
	v_addc_co_u32_e32 v10, vcc, 0, v14, vcc
	v_add_co_u32_e32 v8, vcc, v9, v8
	v_addc_co_u32_e32 v9, vcc, 0, v10, vcc
	v_add_co_u32_e32 v4, vcc, v4, v8
	v_addc_co_u32_e32 v7, vcc, v7, v9, vcc
	v_mul_lo_u32 v8, s0, v7
	v_mul_hi_u32 v9, s0, v4
	v_mul_lo_u32 v10, s1, v4
	v_mul_lo_u32 v11, s0, v4
	v_add_u32_e32 v8, v9, v8
	v_add_u32_e32 v8, v8, v10
	v_mul_lo_u32 v12, v4, v8
	v_mul_hi_u32 v13, v4, v11
	v_mul_hi_u32 v14, v4, v8
	v_mul_hi_u32 v10, v7, v11
	v_mul_lo_u32 v11, v7, v11
	v_mul_hi_u32 v9, v7, v8
	v_add_co_u32_e32 v12, vcc, v13, v12
	v_addc_co_u32_e32 v13, vcc, 0, v14, vcc
	v_mul_lo_u32 v8, v7, v8
	v_add_co_u32_e32 v11, vcc, v12, v11
	v_addc_co_u32_e32 v10, vcc, v13, v10, vcc
	v_addc_co_u32_e32 v9, vcc, 0, v9, vcc
	v_add_co_u32_e32 v8, vcc, v10, v8
	v_addc_co_u32_e32 v9, vcc, 0, v9, vcc
	v_add_co_u32_e32 v4, vcc, v4, v8
	v_addc_co_u32_e32 v9, vcc, v7, v9, vcc
	v_mad_u64_u32 v[7:8], s[0:1], v5, v9, 0
	v_mul_hi_u32 v10, v5, v4
	v_add_co_u32_e32 v11, vcc, v10, v7
	v_addc_co_u32_e32 v12, vcc, 0, v8, vcc
	v_mad_u64_u32 v[7:8], s[0:1], v6, v4, 0
	v_mad_u64_u32 v[9:10], s[0:1], v6, v9, 0
	v_add_co_u32_e32 v4, vcc, v11, v7
	v_addc_co_u32_e32 v4, vcc, v12, v8, vcc
	v_addc_co_u32_e32 v7, vcc, 0, v10, vcc
	v_add_co_u32_e32 v4, vcc, v4, v9
	v_addc_co_u32_e32 v9, vcc, 0, v7, vcc
	v_mul_lo_u32 v10, s25, v4
	v_mul_lo_u32 v11, s24, v9
	v_mad_u64_u32 v[7:8], s[0:1], s24, v4, 0
	v_add3_u32 v8, v8, v11, v10
	v_sub_u32_e32 v10, v6, v8
	v_mov_b32_e32 v11, s25
	v_sub_co_u32_e32 v7, vcc, v5, v7
	v_subb_co_u32_e64 v10, s[0:1], v10, v11, vcc
	v_subrev_co_u32_e64 v11, s[0:1], s24, v7
	v_subbrev_co_u32_e64 v10, s[0:1], 0, v10, s[0:1]
	v_cmp_le_u32_e64 s[0:1], s25, v10
	v_cndmask_b32_e64 v12, 0, -1, s[0:1]
	v_cmp_le_u32_e64 s[0:1], s24, v11
	v_cndmask_b32_e64 v11, 0, -1, s[0:1]
	v_cmp_eq_u32_e64 s[0:1], s25, v10
	v_cndmask_b32_e64 v10, v12, v11, s[0:1]
	v_add_co_u32_e64 v11, s[0:1], 2, v4
	v_addc_co_u32_e64 v12, s[0:1], 0, v9, s[0:1]
	v_add_co_u32_e64 v13, s[0:1], 1, v4
	v_addc_co_u32_e64 v14, s[0:1], 0, v9, s[0:1]
	v_subb_co_u32_e32 v8, vcc, v6, v8, vcc
	v_cmp_ne_u32_e64 s[0:1], 0, v10
	v_cmp_le_u32_e32 vcc, s25, v8
	v_cndmask_b32_e64 v10, v14, v12, s[0:1]
	v_cndmask_b32_e64 v12, 0, -1, vcc
	v_cmp_le_u32_e32 vcc, s24, v7
	v_cndmask_b32_e64 v7, 0, -1, vcc
	v_cmp_eq_u32_e32 vcc, s25, v8
	v_cndmask_b32_e32 v7, v12, v7, vcc
	v_cmp_ne_u32_e32 vcc, 0, v7
	v_cndmask_b32_e64 v7, v13, v11, s[0:1]
	v_cndmask_b32_e32 v95, v9, v10, vcc
	v_cndmask_b32_e32 v94, v4, v7, vcc
.LBB0_4:                                ;   in Loop: Header=BB0_2 Depth=1
	s_andn2_saveexec_b64 s[0:1], s[26:27]
	s_cbranch_execz .LBB0_6
; %bb.5:                                ;   in Loop: Header=BB0_2 Depth=1
	v_cvt_f32_u32_e32 v4, s24
	s_sub_i32 s26, 0, s24
	v_mov_b32_e32 v95, v3
	v_rcp_iflag_f32_e32 v4, v4
	v_mul_f32_e32 v4, 0x4f7ffffe, v4
	v_cvt_u32_f32_e32 v4, v4
	v_mul_lo_u32 v7, s26, v4
	v_mul_hi_u32 v7, v4, v7
	v_add_u32_e32 v4, v4, v7
	v_mul_hi_u32 v4, v5, v4
	v_mul_lo_u32 v7, v4, s24
	v_add_u32_e32 v8, 1, v4
	v_sub_u32_e32 v7, v5, v7
	v_subrev_u32_e32 v9, s24, v7
	v_cmp_le_u32_e32 vcc, s24, v7
	v_cndmask_b32_e32 v7, v7, v9, vcc
	v_cndmask_b32_e32 v4, v4, v8, vcc
	v_add_u32_e32 v8, 1, v4
	v_cmp_le_u32_e32 vcc, s24, v7
	v_cndmask_b32_e32 v94, v4, v8, vcc
.LBB0_6:                                ;   in Loop: Header=BB0_2 Depth=1
	s_or_b64 exec, exec, s[0:1]
	v_mul_lo_u32 v4, v95, s24
	v_mul_lo_u32 v9, v94, s25
	v_mad_u64_u32 v[7:8], s[0:1], v94, s24, 0
	s_load_dwordx2 s[0:1], s[6:7], 0x0
	s_load_dwordx2 s[24:25], s[2:3], 0x0
	v_add3_u32 v4, v8, v9, v4
	v_sub_co_u32_e32 v5, vcc, v5, v7
	v_subb_co_u32_e32 v4, vcc, v6, v4, vcc
	s_waitcnt lgkmcnt(0)
	v_mul_lo_u32 v6, s0, v4
	v_mul_lo_u32 v7, s1, v5
	v_mad_u64_u32 v[1:2], s[0:1], s0, v5, v[1:2]
	v_mul_lo_u32 v4, s24, v4
	v_mul_lo_u32 v8, s25, v5
	v_mad_u64_u32 v[92:93], s[0:1], s24, v5, v[92:93]
	s_add_u32 s22, s22, 1
	s_addc_u32 s23, s23, 0
	s_add_u32 s2, s2, 8
	v_add3_u32 v93, v8, v93, v4
	s_addc_u32 s3, s3, 0
	v_mov_b32_e32 v4, s14
	s_add_u32 s6, s6, 8
	v_mov_b32_e32 v5, s15
	s_addc_u32 s7, s7, 0
	v_cmp_ge_u64_e32 vcc, s[22:23], v[4:5]
	s_add_u32 s20, s20, 8
	v_add3_u32 v2, v7, v2, v6
	s_addc_u32 s21, s21, 0
	s_cbranch_vccnz .LBB0_9
; %bb.7:                                ;   in Loop: Header=BB0_2 Depth=1
	v_mov_b32_e32 v5, v94
	v_mov_b32_e32 v6, v95
	s_branch .LBB0_2
.LBB0_8:
	v_mov_b32_e32 v93, v2
	v_mov_b32_e32 v95, v6
	;; [unrolled: 1-line block ×4, first 2 shown]
.LBB0_9:
	s_mov_b32 s2, 0x1a98ef7
	s_load_dwordx2 s[0:1], s[4:5], 0x28
	v_mul_hi_u32 v3, v0, s2
	s_lshl_b64 s[14:15], s[14:15], 3
	s_movk_i32 s2, 0x8c
	s_add_u32 s4, s18, s14
	v_mul_u32_u24_e32 v3, 0x9a, v3
	s_waitcnt lgkmcnt(0)
	v_cmp_gt_u64_e64 s[0:1], s[0:1], v[94:95]
	v_sub_u32_e32 v96, v0, v3
	v_cmp_gt_u32_e64 s[2:3], s2, v96
	s_addc_u32 s5, s19, s15
	s_and_b64 s[18:19], s[0:1], s[2:3]
                                        ; implicit-def: $vgpr12_vgpr13
                                        ; implicit-def: $vgpr16_vgpr17
                                        ; implicit-def: $vgpr20_vgpr21
                                        ; implicit-def: $vgpr24_vgpr25
                                        ; implicit-def: $vgpr28_vgpr29
                                        ; implicit-def: $vgpr36_vgpr37
                                        ; implicit-def: $vgpr40_vgpr41
                                        ; implicit-def: $vgpr44_vgpr45
                                        ; implicit-def: $vgpr58_vgpr59
                                        ; implicit-def: $vgpr32_vgpr33
                                        ; implicit-def: $vgpr8_vgpr9
	s_and_saveexec_b64 s[6:7], s[18:19]
	s_cbranch_execz .LBB0_11
; %bb.10:
	s_add_u32 s14, s16, s14
	s_addc_u32 s15, s17, s15
	s_load_dwordx2 s[14:15], s[14:15], 0x0
	v_mov_b32_e32 v6, s9
	v_mov_b32_e32 v97, 0
	s_waitcnt lgkmcnt(0)
	v_mul_lo_u32 v0, s15, v94
	v_mul_lo_u32 v5, s14, v95
	v_mad_u64_u32 v[3:4], s[14:15], s14, v94, 0
	v_add3_u32 v4, v4, v5, v0
	v_lshlrev_b64 v[3:4], 4, v[3:4]
	v_lshlrev_b64 v[0:1], 4, v[1:2]
	v_add_co_u32_e32 v3, vcc, s8, v3
	v_addc_co_u32_e32 v4, vcc, v6, v4, vcc
	v_add_co_u32_e32 v2, vcc, v3, v0
	v_addc_co_u32_e32 v3, vcc, v4, v1, vcc
	v_lshlrev_b64 v[0:1], 4, v[96:97]
	s_movk_i32 s8, 0x1000
	v_add_co_u32_e32 v0, vcc, v2, v0
	v_addc_co_u32_e32 v1, vcc, v3, v1, vcc
	v_add_co_u32_e32 v2, vcc, s8, v0
	v_addc_co_u32_e32 v3, vcc, 0, v1, vcc
	s_movk_i32 s8, 0x2000
	v_add_co_u32_e32 v4, vcc, s8, v0
	v_addc_co_u32_e32 v5, vcc, 0, v1, vcc
	s_movk_i32 s8, 0x3000
	;; [unrolled: 3-line block ×3, first 2 shown]
	v_add_co_u32_e32 v48, vcc, s8, v0
	v_addc_co_u32_e32 v49, vcc, 0, v1, vcc
	global_load_dwordx4 v[6:9], v[0:1], off
	global_load_dwordx4 v[30:33], v[0:1], off offset:2240
	v_add_co_u32_e32 v0, vcc, 0x5000, v0
	v_addc_co_u32_e32 v1, vcc, 0, v1, vcc
	global_load_dwordx4 v[56:59], v[2:3], off offset:384
	global_load_dwordx4 v[42:45], v[2:3], off offset:2624
	;; [unrolled: 1-line block ×9, first 2 shown]
.LBB0_11:
	s_or_b64 exec, exec, s[6:7]
	s_waitcnt vmcnt(0)
	v_add_f64 v[0:1], v[10:11], v[30:31]
	s_mov_b32 s6, 0x8764f0ba
	s_mov_b32 s7, 0x3feaeb8c
	v_add_f64 v[46:47], v[32:33], -v[12:13]
	v_add_f64 v[4:5], v[14:15], v[56:57]
	s_mov_b32 s18, 0xf8bb580b
	s_mov_b32 s8, 0xd9c712b6
	;; [unrolled: 1-line block ×3, first 2 shown]
	v_mul_f64 v[50:51], v[0:1], s[6:7]
	s_mov_b32 s9, 0x3fda9628
	v_add_f64 v[52:53], v[58:59], -v[16:17]
	v_add_f64 v[48:49], v[18:19], v[42:43]
	v_mul_f64 v[54:55], v[4:5], s[8:9]
	s_mov_b32 s22, 0x8eee2c13
	s_mov_b32 s14, 0x640f44db
	;; [unrolled: 1-line block ×3, first 2 shown]
	v_fma_f64 v[2:3], v[46:47], s[18:19], v[50:51]
	s_mov_b32 s15, 0xbfc2375f
	v_add_f64 v[62:63], v[44:45], -v[20:21]
	v_add_f64 v[60:61], v[22:23], v[38:39]
	v_mul_f64 v[64:65], v[48:49], s[14:15]
	v_fma_f64 v[68:69], v[52:53], s[22:23], v[54:55]
	s_mov_b32 s24, 0x43842ef
	s_mov_b32 s16, 0x7f775887
	v_add_f64 v[2:3], v[6:7], v[2:3]
	s_mov_b32 s25, 0xbfefac9e
	s_mov_b32 s17, 0xbfe4f49e
	v_add_f64 v[70:71], v[40:41], -v[24:25]
	v_mul_f64 v[66:67], v[60:61], s[16:17]
	v_fma_f64 v[72:73], v[62:63], s[24:25], v[64:65]
	s_mov_b32 s26, 0xbb3a28a1
	s_mov_b32 s20, 0x9bcd5057
	v_add_f64 v[2:3], v[68:69], v[2:3]
	v_add_f64 v[68:69], v[26:27], v[34:35]
	s_mov_b32 s27, 0xbfe82f19
	s_mov_b32 s21, 0xbfeeb42a
	v_add_f64 v[74:75], v[36:37], -v[28:29]
	v_fma_f64 v[76:77], v[70:71], s[26:27], v[66:67]
	s_mov_b32 s28, 0xfd768dbf
	s_mov_b32 s29, 0xbfd207e7
	v_add_f64 v[2:3], v[72:73], v[2:3]
	v_mul_f64 v[72:73], v[68:69], s[20:21]
	v_add_f64 v[2:3], v[76:77], v[2:3]
	v_fma_f64 v[76:77], v[74:75], s[28:29], v[72:73]
	v_add_f64 v[2:3], v[76:77], v[2:3]
	s_and_saveexec_b64 s[30:31], s[2:3]
	s_cbranch_execz .LBB0_13
; %bb.12:
	v_mul_f64 v[76:77], v[46:47], s[28:29]
	s_mov_b32 s35, 0x3fe14ced
	s_mov_b32 s34, s18
	v_mul_f64 v[82:83], v[52:53], s[34:35]
	v_mul_f64 v[88:89], v[46:47], s[26:27]
	s_mov_b32 s37, 0x3fefac9e
	s_mov_b32 s36, s24
	v_mul_f64 v[86:87], v[62:63], s[26:27]
	v_fma_f64 v[84:85], v[0:1], s[20:21], v[76:77]
	v_mul_f64 v[99:100], v[52:53], s[36:37]
	v_fma_f64 v[76:77], v[0:1], s[20:21], -v[76:77]
	v_fma_f64 v[90:91], v[4:5], s[6:7], v[82:83]
	v_fma_f64 v[103:104], v[0:1], s[16:17], v[88:89]
	s_mov_b32 s39, 0x3fed1bb4
	s_mov_b32 s38, s22
	v_fma_f64 v[101:102], v[48:49], s[16:17], v[86:87]
	v_add_f64 v[84:85], v[6:7], v[84:85]
	v_fma_f64 v[107:108], v[4:5], s[14:15], v[99:100]
	v_fma_f64 v[82:83], v[4:5], s[6:7], -v[82:83]
	v_add_f64 v[76:77], v[6:7], v[76:77]
	v_add_f64 v[103:104], v[6:7], v[103:104]
	v_mul_f64 v[97:98], v[70:71], s[38:39]
	v_mul_f64 v[78:79], v[46:47], s[18:19]
	v_fma_f64 v[88:89], v[0:1], s[16:17], -v[88:89]
	v_add_f64 v[84:85], v[90:91], v[84:85]
	v_mul_f64 v[90:91], v[62:63], s[18:19]
	v_mul_f64 v[80:81], v[52:53], s[22:23]
	v_add_f64 v[76:77], v[82:83], v[76:77]
	v_add_f64 v[103:104], v[107:108], v[103:104]
	v_mul_f64 v[82:83], v[74:75], s[24:25]
	v_fma_f64 v[105:106], v[60:61], s[8:9], v[97:98]
	v_fma_f64 v[86:87], v[48:49], s[16:17], -v[86:87]
	v_add_f64 v[84:85], v[101:102], v[84:85]
	v_mul_f64 v[101:102], v[70:71], s[28:29]
	v_fma_f64 v[111:112], v[48:49], s[6:7], v[90:91]
	s_mov_b32 s41, 0x3fd207e7
	s_mov_b32 s40, s28
	v_fma_f64 v[109:110], v[68:69], s[14:15], v[82:83]
	v_add_f64 v[50:51], v[50:51], -v[78:79]
	v_fma_f64 v[99:100], v[4:5], s[14:15], -v[99:100]
	v_add_f64 v[84:85], v[105:106], v[84:85]
	v_fma_f64 v[107:108], v[60:61], s[20:21], v[101:102]
	v_add_f64 v[103:104], v[111:112], v[103:104]
	v_add_f64 v[88:89], v[6:7], v[88:89]
	v_mul_f64 v[113:114], v[52:53], s[40:41]
	v_mul_f64 v[52:53], v[52:53], s[26:27]
	v_add_f64 v[76:77], v[86:87], v[76:77]
	v_mul_f64 v[86:87], v[62:63], s[24:25]
	v_add_f64 v[84:85], v[109:110], v[84:85]
	;; [unrolled: 2-line block ×3, first 2 shown]
	v_add_f64 v[107:108], v[30:31], v[6:7]
	v_mul_f64 v[46:47], v[46:47], s[22:23]
	v_add_f64 v[54:55], v[54:55], -v[80:81]
	v_add_f64 v[50:51], v[6:7], v[50:51]
	v_add_f64 v[88:89], v[99:100], v[88:89]
	v_fma_f64 v[99:100], v[60:61], s[20:21], -v[101:102]
	v_fma_f64 v[115:116], v[0:1], s[14:15], v[109:110]
	v_fma_f64 v[109:110], v[0:1], s[14:15], -v[109:110]
	v_add_f64 v[107:108], v[56:57], v[107:108]
	v_mul_f64 v[101:102], v[62:63], s[38:39]
	v_fma_f64 v[117:118], v[4:5], s[20:21], v[113:114]
	v_fma_f64 v[113:114], v[4:5], s[20:21], -v[113:114]
	v_mul_f64 v[62:63], v[62:63], s[40:41]
	v_mul_f64 v[105:106], v[70:71], s[26:27]
	v_add_f64 v[115:116], v[6:7], v[115:116]
	v_add_f64 v[109:110], v[6:7], v[109:110]
	v_add_f64 v[107:108], v[42:43], v[107:108]
	v_add_f64 v[50:51], v[54:55], v[50:51]
	v_fma_f64 v[90:91], v[48:49], s[6:7], -v[90:91]
	v_mul_f64 v[119:120], v[70:71], s[18:19]
	v_fma_f64 v[121:122], v[48:49], s[8:9], v[101:102]
	v_fma_f64 v[101:102], v[48:49], s[8:9], -v[101:102]
	v_add_f64 v[115:116], v[117:118], v[115:116]
	v_add_f64 v[109:110], v[113:114], v[109:110]
	;; [unrolled: 1-line block ×3, first 2 shown]
	v_mul_f64 v[70:71], v[70:71], s[36:37]
	v_fma_f64 v[97:98], v[60:61], s[8:9], -v[97:98]
	v_mul_f64 v[111:112], v[74:75], s[28:29]
	v_add_f64 v[88:89], v[90:91], v[88:89]
	v_mul_f64 v[90:91], v[74:75], s[26:27]
	v_add_f64 v[113:114], v[121:122], v[115:116]
	v_fma_f64 v[115:116], v[60:61], s[6:7], -v[119:120]
	v_add_f64 v[78:79], v[34:35], v[107:108]
	v_fma_f64 v[107:108], v[0:1], s[8:9], -v[46:47]
	v_fma_f64 v[0:1], v[0:1], s[8:9], v[46:47]
	v_fma_f64 v[46:47], v[4:5], s[16:17], -v[52:53]
	v_fma_f64 v[4:5], v[4:5], s[16:17], v[52:53]
	v_add_f64 v[52:53], v[64:65], -v[86:87]
	v_add_f64 v[101:102], v[101:102], v[109:110]
	v_mul_f64 v[64:65], v[74:75], s[34:35]
	v_add_f64 v[78:79], v[26:27], v[78:79]
	v_add_f64 v[80:81], v[6:7], v[107:108]
	;; [unrolled: 1-line block ×3, first 2 shown]
	v_fma_f64 v[6:7], v[48:49], s[20:21], -v[62:63]
	v_fma_f64 v[48:49], v[48:49], s[20:21], v[62:63]
	v_add_f64 v[62:63], v[66:67], -v[105:106]
	v_add_f64 v[50:51], v[52:53], v[50:51]
	v_fma_f64 v[82:83], v[68:69], s[14:15], -v[82:83]
	v_add_f64 v[54:55], v[22:23], v[78:79]
	v_add_f64 v[46:47], v[46:47], v[80:81]
	;; [unrolled: 1-line block ×3, first 2 shown]
	v_fma_f64 v[4:5], v[60:61], s[14:15], -v[70:71]
	v_add_f64 v[76:77], v[97:98], v[76:77]
	v_mul_f64 v[97:98], v[74:75], s[38:39]
	v_fma_f64 v[117:118], v[60:61], s[6:7], v[119:120]
	v_add_f64 v[50:51], v[62:63], v[50:51]
	v_add_f64 v[52:53], v[18:19], v[54:55]
	;; [unrolled: 1-line block ×3, first 2 shown]
	v_fma_f64 v[54:55], v[60:61], s[14:15], v[70:71]
	v_add_f64 v[0:1], v[48:49], v[0:1]
	v_add_f64 v[60:61], v[72:73], -v[111:112]
	v_add_f64 v[88:89], v[99:100], v[88:89]
	v_fma_f64 v[99:100], v[68:69], s[16:17], v[90:91]
	v_fma_f64 v[90:91], v[68:69], s[16:17], -v[90:91]
	v_add_f64 v[52:53], v[14:15], v[52:53]
	v_add_f64 v[46:47], v[115:116], v[101:102]
	v_fma_f64 v[48:49], v[68:69], s[6:7], -v[64:65]
	v_add_f64 v[4:5], v[4:5], v[6:7]
	v_add_f64 v[76:77], v[82:83], v[76:77]
	v_fma_f64 v[82:83], v[68:69], s[8:9], v[97:98]
	v_fma_f64 v[97:98], v[68:69], s[8:9], -v[97:98]
	v_add_f64 v[6:7], v[117:118], v[113:114]
	v_fma_f64 v[62:63], v[68:69], s[6:7], v[64:65]
	v_add_f64 v[0:1], v[54:55], v[0:1]
	v_add_f64 v[50:51], v[60:61], v[50:51]
	;; [unrolled: 1-line block ×9, first 2 shown]
	s_movk_i32 s33, 0x58
	v_mad_u32_u24 v60, v96, s33, 0
	ds_write2_b64 v60, v[52:53], v[50:51] offset1:1
	ds_write2_b64 v60, v[4:5], v[46:47] offset0:2 offset1:3
	ds_write2_b64 v60, v[48:49], v[76:77] offset0:4 offset1:5
	;; [unrolled: 1-line block ×4, first 2 shown]
	ds_write_b64 v60, v[2:3] offset:80
.LBB0_13:
	s_or_b64 exec, exec, s[30:31]
	v_add_f64 v[76:77], v[30:31], -v[10:11]
	v_add_f64 v[70:71], v[12:13], v[32:33]
	v_add_f64 v[74:75], v[56:57], -v[14:15]
	v_add_f64 v[68:69], v[16:17], v[58:59]
	;; [unrolled: 2-line block ×4, first 2 shown]
	v_mul_f64 v[72:73], v[76:77], s[18:19]
	v_add_f64 v[4:5], v[34:35], -v[26:27]
	v_mul_f64 v[78:79], v[74:75], s[22:23]
	v_lshl_add_u32 v102, v96, 3, 0
	v_mul_f64 v[38:39], v[42:43], s[24:25]
	s_waitcnt lgkmcnt(0)
	v_mul_f64 v[22:23], v[14:15], s[26:27]
	s_barrier
	v_fma_f64 v[0:1], v[70:71], s[6:7], -v[72:73]
	v_mul_f64 v[18:19], v[4:5], s[28:29]
	v_fma_f64 v[6:7], v[68:69], s[8:9], -v[78:79]
	v_fma_f64 v[26:27], v[30:31], s[14:15], -v[38:39]
	ds_read2_b64 v[60:63], v102 offset1:154
	v_fma_f64 v[34:35], v[10:11], s[16:17], -v[22:23]
	v_add_f64 v[0:1], v[8:9], v[0:1]
	v_add_f64 v[6:7], v[6:7], v[0:1]
	v_add_f64 v[0:1], v[28:29], v[36:37]
	v_add_f64 v[6:7], v[26:27], v[6:7]
	v_fma_f64 v[50:51], v[0:1], s[20:21], -v[18:19]
	v_add_u32_e32 v26, 0x1200, v102
	v_add_u32_e32 v27, 0x1c00, v102
	ds_read2_b64 v[54:57], v26 offset0:40 offset1:194
	ds_read2_b64 v[46:49], v27 offset0:28 offset1:182
	v_add_f64 v[6:7], v[34:35], v[6:7]
	v_add_u32_e32 v34, 0x800, v102
	v_add_u32_e32 v35, 0x2400, v102
	ds_read2_b64 v[64:67], v34 offset0:52 offset1:206
	v_add_f64 v[6:7], v[50:51], v[6:7]
	ds_read2_b64 v[50:53], v35 offset0:80 offset1:234
	s_waitcnt lgkmcnt(0)
	s_barrier
	s_and_saveexec_b64 s[18:19], s[2:3]
	s_cbranch_execz .LBB0_15
; %bb.14:
	v_add_f64 v[32:33], v[32:33], v[8:9]
	v_mul_f64 v[84:85], v[30:31], s[14:15]
	v_mul_f64 v[88:89], v[0:1], s[20:21]
	s_mov_b32 s14, 0x43842ef
	s_mov_b32 s20, 0xbb3a28a1
	;; [unrolled: 1-line block ×4, first 2 shown]
	v_mul_f64 v[82:83], v[68:69], s[8:9]
	v_add_f64 v[32:33], v[58:59], v[32:33]
	v_mul_f64 v[80:81], v[70:71], s[6:7]
	s_mov_b32 s6, 0x640f44db
	s_mov_b32 s26, 0xfd768dbf
	s_mov_b32 s28, 0xf8bb580b
	s_mov_b32 s9, 0xbfed1bb4
	s_mov_b32 s8, 0x8eee2c13
	s_mov_b32 s7, 0xbfc2375f
	v_add_f64 v[32:33], v[44:45], v[32:33]
	v_mul_f64 v[44:45], v[76:77], s[20:21]
	s_mov_b32 s27, 0xbfd207e7
	s_mov_b32 s35, 0x3fd207e7
	;; [unrolled: 1-line block ×6, first 2 shown]
	v_add_f64 v[32:33], v[40:41], v[32:33]
	v_mul_f64 v[40:41], v[76:77], s[8:9]
	v_mul_f64 v[58:59], v[76:77], s[26:27]
	;; [unrolled: 1-line block ×3, first 2 shown]
	v_add_f64 v[78:79], v[82:83], v[78:79]
	v_add_f64 v[72:73], v[80:81], v[72:73]
	s_mov_b32 s24, 0x9bcd5057
	s_mov_b32 s2, 0xd9c712b6
	v_add_f64 v[32:33], v[36:37], v[32:33]
	v_mul_f64 v[36:37], v[76:77], s[14:15]
	v_mul_f64 v[76:77], v[74:75], s[20:21]
	s_mov_b32 s25, 0xbfeeb42a
	s_mov_b32 s3, 0x3fda9628
	v_fma_f64 v[80:81], v[70:71], s[2:3], v[40:41]
	v_fma_f64 v[40:41], v[70:71], s[2:3], -v[40:41]
	v_add_f64 v[72:73], v[8:9], v[72:73]
	v_add_f64 v[28:29], v[28:29], v[32:33]
	v_mul_f64 v[32:33], v[74:75], s[34:35]
	v_mul_f64 v[74:75], v[74:75], s[30:31]
	v_fma_f64 v[82:83], v[70:71], s[6:7], v[36:37]
	v_fma_f64 v[97:98], v[70:71], s[24:25], v[58:59]
	v_fma_f64 v[58:59], v[70:71], s[24:25], -v[58:59]
	v_add_f64 v[80:81], v[8:9], v[80:81]
	v_add_f64 v[38:39], v[84:85], v[38:39]
	;; [unrolled: 1-line block ×3, first 2 shown]
	v_fma_f64 v[28:29], v[70:71], s[6:7], -v[36:37]
	v_fma_f64 v[36:37], v[70:71], s[16:17], v[44:45]
	v_fma_f64 v[44:45], v[70:71], s[16:17], -v[44:45]
	v_fma_f64 v[99:100], v[68:69], s[24:25], v[32:33]
	;; [unrolled: 2-line block ×3, first 2 shown]
	v_fma_f64 v[74:75], v[68:69], s[6:7], -v[74:75]
	v_add_f64 v[20:21], v[20:21], v[24:25]
	v_add_f64 v[28:29], v[8:9], v[28:29]
	;; [unrolled: 1-line block ×4, first 2 shown]
	v_fma_f64 v[70:71], v[68:69], s[16:17], v[76:77]
	v_fma_f64 v[76:77], v[68:69], s[16:17], -v[76:77]
	s_mov_b32 s22, 0x8764f0ba
	s_mov_b32 s23, 0x3feaeb8c
	v_add_f64 v[16:17], v[16:17], v[20:21]
	v_add_f64 v[28:29], v[32:33], v[28:29]
	;; [unrolled: 1-line block ×4, first 2 shown]
	v_mul_f64 v[44:45], v[42:43], s[34:35]
	s_mov_b32 s35, 0xbfe14ced
	s_mov_b32 s34, s28
	v_add_f64 v[20:21], v[8:9], v[40:41]
	v_add_f64 v[12:13], v[12:13], v[16:17]
	;; [unrolled: 1-line block ×3, first 2 shown]
	v_mul_f64 v[72:73], v[42:43], s[34:35]
	s_mov_b32 s9, 0x3fed1bb4
	v_fma_f64 v[24:25], v[68:69], s[22:23], v[90:91]
	v_add_f64 v[40:41], v[8:9], v[82:83]
	v_add_f64 v[82:83], v[8:9], v[97:98]
	;; [unrolled: 1-line block ×5, first 2 shown]
	v_fma_f64 v[68:69], v[68:69], s[22:23], -v[90:91]
	v_mul_f64 v[70:71], v[42:43], s[8:9]
	v_fma_f64 v[74:75], v[30:31], s[24:25], v[44:45]
	v_fma_f64 v[44:45], v[30:31], s[24:25], -v[44:45]
	v_mul_f64 v[42:43], v[42:43], s[20:21]
	v_add_f64 v[16:17], v[38:39], v[16:17]
	v_fma_f64 v[38:39], v[30:31], s[22:23], v[72:73]
	v_mul_f64 v[86:87], v[10:11], s[16:17]
	v_add_f64 v[40:41], v[99:100], v[40:41]
	v_add_f64 v[8:9], v[68:69], v[8:9]
	v_fma_f64 v[68:69], v[30:31], s[2:3], v[70:71]
	v_fma_f64 v[70:71], v[30:31], s[2:3], -v[70:71]
	v_add_f64 v[20:21], v[44:45], v[20:21]
	v_fma_f64 v[44:45], v[30:31], s[22:23], -v[72:73]
	v_fma_f64 v[72:73], v[30:31], s[16:17], v[42:43]
	v_add_f64 v[32:33], v[38:39], v[32:33]
	v_fma_f64 v[30:31], v[30:31], s[16:17], -v[42:43]
	v_mul_f64 v[38:39], v[14:15], s[34:35]
	v_mul_f64 v[42:43], v[14:15], s[26:27]
	v_add_f64 v[40:41], v[68:69], v[40:41]
	v_add_f64 v[28:29], v[70:71], v[28:29]
	v_mul_f64 v[68:69], v[14:15], s[30:31]
	v_add_f64 v[22:23], v[86:87], v[22:23]
	v_mul_f64 v[14:15], v[14:15], s[8:9]
	v_add_f64 v[8:9], v[30:31], v[8:9]
	v_fma_f64 v[30:31], v[10:11], s[22:23], v[38:39]
	v_fma_f64 v[38:39], v[10:11], s[22:23], -v[38:39]
	v_add_f64 v[24:25], v[24:25], v[82:83]
	v_add_f64 v[36:37], v[44:45], v[36:37]
	v_fma_f64 v[70:71], v[10:11], s[24:25], v[42:43]
	v_fma_f64 v[42:43], v[10:11], s[24:25], -v[42:43]
	v_add_f64 v[58:59], v[74:75], v[58:59]
	v_fma_f64 v[44:45], v[10:11], s[6:7], v[68:69]
	v_fma_f64 v[68:69], v[10:11], s[6:7], -v[68:69]
	v_add_f64 v[16:17], v[22:23], v[16:17]
	v_add_f64 v[30:31], v[30:31], v[40:41]
	;; [unrolled: 1-line block ×3, first 2 shown]
	v_fma_f64 v[38:39], v[10:11], s[2:3], v[14:15]
	v_fma_f64 v[10:11], v[10:11], s[2:3], -v[14:15]
	v_add_f64 v[14:15], v[88:89], v[18:19]
	v_mul_f64 v[18:19], v[4:5], s[28:29]
	v_mul_f64 v[40:41], v[4:5], s[20:21]
	v_add_f64 v[24:25], v[72:73], v[24:25]
	v_add_f64 v[36:37], v[42:43], v[36:37]
	v_mul_f64 v[42:43], v[4:5], s[8:9]
	v_mul_f64 v[4:5], v[4:5], s[14:15]
	v_add_f64 v[22:23], v[44:45], v[58:59]
	v_add_f64 v[8:9], v[10:11], v[8:9]
	;; [unrolled: 1-line block ×3, first 2 shown]
	v_fma_f64 v[14:15], v[0:1], s[22:23], v[18:19]
	v_fma_f64 v[16:17], v[0:1], s[22:23], -v[18:19]
	v_fma_f64 v[18:19], v[0:1], s[16:17], v[40:41]
	v_add_f64 v[20:21], v[68:69], v[20:21]
	v_add_f64 v[32:33], v[70:71], v[32:33]
	;; [unrolled: 1-line block ×3, first 2 shown]
	v_fma_f64 v[38:39], v[0:1], s[2:3], v[42:43]
	v_fma_f64 v[44:45], v[0:1], s[6:7], v[4:5]
	v_fma_f64 v[42:43], v[0:1], s[2:3], -v[42:43]
	v_fma_f64 v[4:5], v[0:1], s[6:7], -v[4:5]
	;; [unrolled: 1-line block ×3, first 2 shown]
	v_add_f64 v[14:15], v[14:15], v[22:23]
	v_add_f64 v[18:19], v[18:19], v[30:31]
	;; [unrolled: 1-line block ×8, first 2 shown]
	s_movk_i32 s2, 0x50
	v_mad_u32_u24 v8, v96, s2, v102
	ds_write2_b64 v8, v[12:13], v[10:11] offset1:1
	ds_write2_b64 v8, v[14:15], v[18:19] offset0:2 offset1:3
	ds_write2_b64 v8, v[20:21], v[24:25] offset0:4 offset1:5
	;; [unrolled: 1-line block ×4, first 2 shown]
	ds_write_b64 v8, v[6:7] offset:80
.LBB0_15:
	s_or_b64 exec, exec, s[18:19]
	s_load_dwordx2 s[2:3], s[4:5], 0x0
	s_movk_i32 s4, 0x75
	v_mul_lo_u16_sdwa v0, v96, s4 dst_sel:DWORD dst_unused:UNUSED_PAD src0_sel:BYTE_0 src1_sel:DWORD
	v_sub_u16_sdwa v1, v96, v0 dst_sel:DWORD dst_unused:UNUSED_PAD src0_sel:DWORD src1_sel:BYTE_1
	v_lshrrev_b16_e32 v1, 1, v1
	v_and_b32_e32 v1, 0x7f, v1
	v_add_u32_e32 v97, 0x9a, v96
	v_add_u16_sdwa v0, v1, v0 dst_sel:DWORD dst_unused:UNUSED_PAD src0_sel:DWORD src1_sel:BYTE_1
	s_mov_b32 s4, 0xba2f
	v_lshrrev_b16_e32 v28, 3, v0
	v_mul_u32_u24_sdwa v1, v97, s4 dst_sel:DWORD dst_unused:UNUSED_PAD src0_sel:WORD_0 src1_sel:DWORD
	v_mul_lo_u16_e32 v0, 11, v28
	v_lshrrev_b32_e32 v1, 19, v1
	v_sub_u16_e32 v29, v96, v0
	v_mov_b32_e32 v0, 4
	v_mul_lo_u16_e32 v4, 11, v1
	v_add_u32_e32 v100, 0x134, v96
	v_lshlrev_b32_sdwa v0, v0, v29 dst_sel:DWORD dst_unused:UNUSED_PAD src0_sel:DWORD src1_sel:BYTE_0
	v_sub_u16_e32 v4, v97, v4
	v_add_u32_e32 v98, 0x1ce, v96
	s_waitcnt lgkmcnt(0)
	s_barrier
	v_lshlrev_b32_e32 v5, 4, v4
	global_load_dwordx4 v[8:11], v0, s[12:13]
	global_load_dwordx4 v[16:19], v5, s[12:13]
	v_mul_u32_u24_sdwa v0, v100, s4 dst_sel:DWORD dst_unused:UNUSED_PAD src0_sel:WORD_0 src1_sel:DWORD
	v_lshrrev_b32_e32 v0, 19, v0
	v_mul_u32_u24_sdwa v13, v98, s4 dst_sel:DWORD dst_unused:UNUSED_PAD src0_sel:WORD_0 src1_sel:DWORD
	v_mul_lo_u16_e32 v5, 11, v0
	v_lshrrev_b32_e32 v13, 19, v13
	v_sub_u16_e32 v5, v100, v5
	v_mul_lo_u16_e32 v14, 11, v13
	v_add_u32_e32 v58, 0x268, v96
	v_lshlrev_b32_e32 v12, 4, v5
	v_sub_u16_e32 v22, v98, v14
	v_lshlrev_b32_e32 v14, 4, v22
	global_load_dwordx4 v[36:39], v12, s[12:13]
	global_load_dwordx4 v[40:43], v14, s[12:13]
	v_mul_u32_u24_sdwa v12, v58, s4 dst_sel:DWORD dst_unused:UNUSED_PAD src0_sel:WORD_0 src1_sel:DWORD
	v_lshrrev_b32_e32 v12, 19, v12
	v_mul_lo_u16_e32 v14, 11, v12
	v_sub_u16_e32 v23, v58, v14
	v_lshlrev_b32_e32 v14, 4, v23
	global_load_dwordx4 v[80:83], v14, s[12:13]
	ds_read2_b64 v[72:75], v102 offset1:154
	ds_read2_b64 v[68:71], v26 offset0:40 offset1:194
	ds_read2_b64 v[84:87], v27 offset0:28 offset1:182
	;; [unrolled: 1-line block ×4, first 2 shown]
	v_mul_u32_u24_e32 v24, 0xb0, v1
	v_mul_u32_u24_e32 v25, 0xb0, v0
	v_lshlrev_b32_e32 v31, 3, v4
	v_lshlrev_b32_e32 v32, 3, v5
	v_mul_u32_u24_e32 v27, 0xb0, v13
	v_mul_u32_u24_e32 v30, 0xb0, v12
	v_lshlrev_b32_e32 v22, 3, v22
	v_lshlrev_b32_e32 v23, 3, v23
	v_add3_u32 v103, 0, v27, v22
	v_add3_u32 v104, 0, v30, v23
	v_add3_u32 v45, 0, v24, v31
	v_add3_u32 v101, 0, v25, v32
	v_mov_b32_e32 v26, 3
	v_lshlrev_b32_sdwa v33, v26, v29 dst_sel:DWORD dst_unused:UNUSED_PAD src0_sel:DWORD src1_sel:BYTE_0
	v_mul_u32_u24_e32 v32, 0xb0, v28
	v_add_u32_e32 v44, 0xd00, v102
	v_add_u32_e32 v99, 0x1b00, v102
	s_waitcnt vmcnt(0) lgkmcnt(0)
	s_barrier
	s_movk_i32 s4, 0x42
	v_cmp_gt_u32_e32 vcc, s4, v96
	v_mul_f64 v[0:1], v[70:71], v[10:11]
	v_mul_f64 v[4:5], v[84:85], v[18:19]
	v_fma_f64 v[0:1], v[56:57], v[8:9], -v[0:1]
	v_fma_f64 v[4:5], v[46:47], v[16:17], -v[4:5]
	v_mul_f64 v[12:13], v[86:87], v[38:39]
	v_mul_f64 v[14:15], v[88:89], v[42:43]
	v_add_f64 v[22:23], v[60:61], -v[0:1]
	v_add_f64 v[4:5], v[62:63], -v[4:5]
	v_mul_f64 v[20:21], v[90:91], v[82:83]
	v_fma_f64 v[12:13], v[48:49], v[36:37], -v[12:13]
	v_fma_f64 v[14:15], v[50:51], v[40:41], -v[14:15]
	v_fma_f64 v[26:27], v[62:63], 2.0, -v[4:5]
	v_fma_f64 v[20:21], v[52:53], v[80:81], -v[20:21]
	v_add_f64 v[24:25], v[64:65], -v[12:13]
	v_add_f64 v[12:13], v[66:67], -v[14:15]
	;; [unrolled: 1-line block ×3, first 2 shown]
	v_fma_f64 v[20:21], v[60:61], 2.0, -v[22:23]
	v_fma_f64 v[28:29], v[64:65], 2.0, -v[24:25]
	;; [unrolled: 1-line block ×3, first 2 shown]
	v_add3_u32 v61, 0, v32, v33
	v_fma_f64 v[14:15], v[54:55], 2.0, -v[0:1]
	ds_write2_b64 v61, v[20:21], v[22:23] offset1:11
	ds_write2_b64 v45, v[26:27], v[4:5] offset1:11
	ds_write2_b64 v101, v[28:29], v[24:25] offset1:11
	ds_write2_b64 v103, v[30:31], v[12:13] offset1:11
	ds_write2_b64 v104, v[14:15], v[0:1] offset1:11
	s_waitcnt lgkmcnt(0)
	s_barrier
	ds_read2_b64 v[24:27], v102 offset1:220
	ds_read2_b64 v[32:35], v44 offset0:24 offset1:244
	ds_read2_b64 v[28:31], v99 offset0:16 offset1:236
	ds_read_b64 v[59:60], v102 offset:10560
                                        ; implicit-def: $vgpr54_vgpr55
                                        ; implicit-def: $vgpr22_vgpr23
	s_and_saveexec_b64 s[4:5], vcc
	s_cbranch_execz .LBB0_17
; %bb.16:
	v_add_u32_e32 v0, 0x400, v102
	ds_read2_b64 v[12:15], v0 offset0:26 offset1:246
	v_add_u32_e32 v0, 0x1200, v102
	v_add_u32_e32 v4, 0x2000, v102
	ds_read2_b64 v[0:3], v0 offset0:18 offset1:238
	ds_read2_b64 v[20:23], v4 offset0:10 offset1:230
	ds_read_b64 v[54:55], v102 offset:11792
.LBB0_17:
	s_or_b64 exec, exec, s[4:5]
	v_mul_f64 v[4:5], v[56:57], v[10:11]
	v_mul_f64 v[10:11], v[46:47], v[18:19]
	;; [unrolled: 1-line block ×5, first 2 shown]
	s_waitcnt lgkmcnt(0)
	s_barrier
	v_fma_f64 v[4:5], v[70:71], v[8:9], v[4:5]
	v_fma_f64 v[8:9], v[84:85], v[16:17], v[10:11]
	;; [unrolled: 1-line block ×5, first 2 shown]
                                        ; implicit-def: $vgpr48_vgpr49
	v_add_f64 v[36:37], v[72:73], -v[4:5]
	v_add_f64 v[38:39], v[74:75], -v[8:9]
	;; [unrolled: 1-line block ×5, first 2 shown]
	v_fma_f64 v[16:17], v[72:73], 2.0, -v[36:37]
	v_fma_f64 v[18:19], v[74:75], 2.0, -v[38:39]
	;; [unrolled: 1-line block ×5, first 2 shown]
	ds_write2_b64 v61, v[16:17], v[36:37] offset1:11
	ds_write2_b64 v45, v[18:19], v[38:39] offset1:11
	;; [unrolled: 1-line block ×5, first 2 shown]
	s_waitcnt lgkmcnt(0)
	s_barrier
	ds_read2_b64 v[16:19], v102 offset1:220
	ds_read2_b64 v[44:47], v44 offset0:24 offset1:244
	ds_read2_b64 v[40:43], v99 offset0:16 offset1:236
	ds_read_b64 v[50:51], v102 offset:10560
                                        ; implicit-def: $vgpr38_vgpr39
	s_and_saveexec_b64 s[4:5], vcc
	s_cbranch_execz .LBB0_19
; %bb.18:
	v_add_u32_e32 v4, 0x400, v102
	ds_read2_b64 v[8:11], v4 offset0:26 offset1:246
	v_add_u32_e32 v4, 0x1200, v102
	v_add_u32_e32 v36, 0x2000, v102
	ds_read2_b64 v[4:7], v4 offset0:18 offset1:238
	ds_read2_b64 v[36:39], v36 offset0:10 offset1:230
	ds_read_b64 v[48:49], v102 offset:11792
.LBB0_19:
	s_or_b64 exec, exec, s[4:5]
	v_lshrrev_b16_e32 v52, 1, v96
	v_and_b32_e32 v52, 0x7f, v52
	v_mul_lo_u16_e32 v52, 0xbb, v52
	v_lshrrev_b16_e32 v52, 11, v52
	v_mul_lo_u16_e32 v53, 22, v52
	v_sub_u16_e32 v53, v96, v53
	v_mov_b32_e32 v56, 6
	v_mul_u32_u24_sdwa v56, v53, v56 dst_sel:DWORD dst_unused:UNUSED_PAD src0_sel:BYTE_0 src1_sel:DWORD
	v_lshlrev_b32_e32 v56, 4, v56
	global_load_dwordx4 v[61:64], v56, s[12:13] offset:192
	s_mov_b32 s4, 0xba2f
	v_mul_u32_u24_sdwa v57, v97, s4 dst_sel:DWORD dst_unused:UNUSED_PAD src0_sel:WORD_0 src1_sel:DWORD
	v_lshrrev_b32_e32 v57, 20, v57
	v_mul_lo_u16_e32 v57, 22, v57
	v_sub_u16_e32 v91, v97, v57
	v_mul_u32_u24_e32 v57, 6, v91
	v_lshlrev_b32_e32 v57, 4, v57
	global_load_dwordx4 v[75:78], v57, s[12:13] offset:176
	global_load_dwordx4 v[65:68], v56, s[12:13] offset:208
	;; [unrolled: 1-line block ×11, first 2 shown]
	v_mov_b32_e32 v56, 3
	v_mul_u32_u24_e32 v52, 0x4d0, v52
	v_lshlrev_b32_sdwa v53, v56, v53 dst_sel:DWORD dst_unused:UNUSED_PAD src0_sel:DWORD src1_sel:BYTE_0
	v_add3_u32 v74, 0, v52, v53
	s_mov_b32 s6, 0x37e14327
	s_mov_b32 s4, 0x36b3c0b5
	;; [unrolled: 1-line block ×20, first 2 shown]
	v_lshrrev_b16_e32 v73, 1, v97
	s_waitcnt vmcnt(0) lgkmcnt(0)
	s_barrier
	v_mul_f64 v[123:124], v[10:11], v[77:78]
	v_mul_f64 v[52:53], v[44:45], v[63:64]
	;; [unrolled: 1-line block ×7, first 2 shown]
	v_fma_f64 v[52:53], v[32:33], v[61:62], -v[52:53]
	v_fma_f64 v[56:57], v[44:45], v[61:62], v[56:57]
	v_mul_f64 v[32:33], v[0:1], v[81:82]
	v_mul_f64 v[44:45], v[50:51], v[85:86]
	v_fma_f64 v[61:62], v[34:35], v[65:66], -v[63:64]
	v_mul_f64 v[34:35], v[18:19], v[71:72]
	v_mul_f64 v[81:82], v[42:43], v[89:90]
	v_fma_f64 v[46:47], v[46:47], v[65:66], v[67:68]
	v_mul_f64 v[67:68], v[26:27], v[71:72]
	v_mul_f64 v[71:72], v[40:41], v[105:106]
	;; [unrolled: 1-line block ×4, first 2 shown]
	v_fma_f64 v[63:64], v[59:60], v[83:84], -v[44:45]
	v_mul_f64 v[44:45], v[59:60], v[85:86]
	v_fma_f64 v[59:60], v[26:27], v[69:70], -v[34:35]
	v_fma_f64 v[65:66], v[30:31], v[87:88], -v[81:82]
	v_fma_f64 v[67:68], v[18:19], v[69:70], v[67:68]
	v_fma_f64 v[18:19], v[28:29], v[103:104], -v[71:72]
	v_fma_f64 v[69:70], v[40:41], v[103:104], v[105:106]
	v_fma_f64 v[71:72], v[42:43], v[87:88], v[89:90]
	v_fma_f64 v[26:27], v[14:15], v[75:76], -v[123:124]
	v_fma_f64 v[50:51], v[50:51], v[83:84], v[44:45]
	v_add_f64 v[34:35], v[59:60], v[63:64]
	v_add_f64 v[40:41], v[52:53], v[65:66]
	v_fma_f64 v[28:29], v[10:11], v[75:76], v[77:78]
	v_add_f64 v[81:82], v[61:62], v[18:19]
	v_add_f64 v[85:86], v[69:70], -v[46:47]
	v_add_f64 v[83:84], v[56:57], -v[71:72]
	v_mul_f64 v[30:31], v[6:7], v[109:110]
	v_add_f64 v[89:90], v[67:68], -v[50:51]
	v_mul_f64 v[42:43], v[2:3], v[109:110]
	v_add_f64 v[103:104], v[40:41], v[34:35]
	v_mul_f64 v[44:45], v[36:37], v[113:114]
	v_add_f64 v[10:11], v[34:35], -v[81:82]
	v_add_f64 v[14:15], v[81:82], -v[40:41]
	;; [unrolled: 1-line block ×3, first 2 shown]
	v_add_f64 v[75:76], v[85:86], v[83:84]
	v_add_f64 v[83:84], v[83:84], -v[89:90]
	v_add_f64 v[34:35], v[40:41], -v[34:35]
	v_add_f64 v[81:82], v[81:82], v[103:104]
	v_add_f64 v[85:86], v[89:90], -v[85:86]
	v_mul_f64 v[10:11], v[10:11], s[6:7]
	v_mul_f64 v[40:41], v[14:15], s[4:5]
	;; [unrolled: 1-line block ×3, first 2 shown]
	v_add_f64 v[75:76], v[75:76], v[89:90]
	v_mul_f64 v[89:90], v[83:84], s[8:9]
	v_mul_f64 v[87:88], v[20:21], v[113:114]
	v_add_f64 v[105:106], v[24:25], v[81:82]
	v_mul_f64 v[103:104], v[38:39], v[117:118]
	v_fma_f64 v[14:15], v[14:15], s[4:5], v[10:11]
	v_fma_f64 v[40:41], v[34:35], s[18:19], -v[40:41]
	v_fma_f64 v[10:11], v[34:35], s[20:21], -v[10:11]
	v_fma_f64 v[34:35], v[85:86], s[22:23], v[77:78]
	v_fma_f64 v[77:78], v[83:84], s[8:9], -v[77:78]
	v_fma_f64 v[85:86], v[85:86], s[26:27], -v[89:90]
	v_fma_f64 v[81:82], v[81:82], s[16:17], v[105:106]
	v_mul_f64 v[109:110], v[22:23], v[117:118]
	v_mul_f64 v[83:84], v[48:49], v[121:122]
	;; [unrolled: 1-line block ×3, first 2 shown]
	v_fma_f64 v[24:25], v[0:1], v[79:80], -v[125:126]
	v_fma_f64 v[0:1], v[75:76], s[24:25], v[34:35]
	v_fma_f64 v[32:33], v[4:5], v[79:80], v[32:33]
	v_fma_f64 v[30:31], v[2:3], v[107:108], -v[30:31]
	v_add_f64 v[14:15], v[14:15], v[81:82]
	v_fma_f64 v[2:3], v[75:76], s[24:25], v[77:78]
	v_fma_f64 v[4:5], v[75:76], s[24:25], v[85:86]
	v_add_f64 v[10:11], v[10:11], v[81:82]
	v_add_f64 v[75:76], v[40:41], v[81:82]
	v_fma_f64 v[34:35], v[6:7], v[107:108], v[42:43]
	v_fma_f64 v[40:41], v[20:21], v[111:112], -v[44:45]
	v_fma_f64 v[36:37], v[36:37], v[111:112], v[87:88]
	v_fma_f64 v[22:23], v[22:23], v[115:116], -v[103:104]
	v_fma_f64 v[38:39], v[38:39], v[115:116], v[109:110]
	v_add_f64 v[6:7], v[0:1], v[14:15]
	v_fma_f64 v[42:43], v[54:55], v[119:120], -v[83:84]
	v_fma_f64 v[44:45], v[48:49], v[119:120], v[89:90]
	v_add_f64 v[20:21], v[4:5], v[10:11]
	v_add_f64 v[77:78], v[75:76], -v[2:3]
	v_add_f64 v[2:3], v[2:3], v[75:76]
	v_add_f64 v[4:5], v[10:11], -v[4:5]
	v_add_f64 v[0:1], v[14:15], -v[0:1]
	v_lshlrev_b32_e32 v54, 3, v91
	ds_write2_b64 v74, v[105:106], v[6:7] offset1:22
	ds_write2_b64 v74, v[20:21], v[77:78] offset0:44 offset1:66
	ds_write2_b64 v74, v[2:3], v[4:5] offset0:88 offset1:110
	ds_write_b64 v74, v[0:1] offset:1056
	s_and_saveexec_b64 s[28:29], vcc
	s_cbranch_execz .LBB0_21
; %bb.20:
	v_add_f64 v[0:1], v[24:25], v[22:23]
	v_add_f64 v[2:3], v[26:27], v[42:43]
	v_add_f64 v[4:5], v[36:37], -v[34:35]
	v_add_f64 v[6:7], v[32:33], -v[38:39]
	v_add_f64 v[10:11], v[30:31], v[40:41]
	v_add_f64 v[14:15], v[28:29], -v[44:45]
	v_and_b32_e32 v55, 0x7f, v73
	v_add_f64 v[20:21], v[0:1], v[2:3]
	v_add_f64 v[48:49], v[4:5], -v[6:7]
	v_add_f64 v[75:76], v[2:3], -v[10:11]
	;; [unrolled: 1-line block ×4, first 2 shown]
	v_add_f64 v[6:7], v[4:5], v[6:7]
	v_add_f64 v[4:5], v[14:15], -v[4:5]
	v_add_f64 v[10:11], v[10:11], v[20:21]
	v_add_f64 v[0:1], v[0:1], -v[2:3]
	v_mul_f64 v[2:3], v[48:49], s[14:15]
	v_mul_f64 v[20:21], v[75:76], s[6:7]
	;; [unrolled: 1-line block ×4, first 2 shown]
	v_add_f64 v[6:7], v[6:7], v[14:15]
	v_add_f64 v[12:13], v[12:13], v[10:11]
	v_fma_f64 v[14:15], v[4:5], s[22:23], v[2:3]
	v_fma_f64 v[81:82], v[0:1], s[20:21], -v[20:21]
	v_fma_f64 v[4:5], v[4:5], s[26:27], -v[48:49]
	v_fma_f64 v[2:3], v[77:78], s[8:9], -v[2:3]
	v_fma_f64 v[0:1], v[0:1], s[18:19], -v[75:76]
	v_fma_f64 v[20:21], v[79:80], s[4:5], v[20:21]
	v_fma_f64 v[10:11], v[10:11], s[16:17], v[12:13]
	;; [unrolled: 1-line block ×5, first 2 shown]
	v_add_f64 v[6:7], v[81:82], v[10:11]
	v_add_f64 v[0:1], v[0:1], v[10:11]
	v_add_f64 v[10:11], v[20:21], v[10:11]
	v_add_f64 v[20:21], v[6:7], -v[4:5]
	v_add_f64 v[48:49], v[0:1], -v[2:3]
	v_add_f64 v[75:76], v[14:15], v[10:11]
	v_add_f64 v[4:5], v[4:5], v[6:7]
	v_add_f64 v[0:1], v[2:3], v[0:1]
	v_add_f64 v[2:3], v[10:11], -v[14:15]
	v_mul_lo_u16_e32 v6, 0xbb, v55
	v_lshrrev_b16_e32 v6, 11, v6
	v_mul_u32_u24_e32 v6, 0x4d0, v6
	v_add3_u32 v6, 0, v6, v54
	ds_write2_b64 v6, v[12:13], v[75:76] offset1:22
	ds_write2_b64 v6, v[4:5], v[48:49] offset0:44 offset1:66
	ds_write2_b64 v6, v[0:1], v[20:21] offset0:88 offset1:110
	ds_write_b64 v6, v[2:3] offset:1056
.LBB0_21:
	s_or_b64 exec, exec, s[28:29]
	v_add_f64 v[4:5], v[67:68], v[50:51]
	v_add_f64 v[6:7], v[56:57], v[71:72]
	v_add_f64 v[0:1], v[52:53], -v[65:66]
	v_add_f64 v[2:3], v[46:47], v[69:70]
	v_add_f64 v[10:11], v[18:19], -v[61:62]
	v_add_f64 v[12:13], v[59:60], -v[63:64]
	s_waitcnt lgkmcnt(0)
	s_barrier
	v_add_f64 v[14:15], v[6:7], v[4:5]
	v_add_f64 v[18:19], v[4:5], -v[2:3]
	v_add_f64 v[20:21], v[10:11], -v[0:1]
	;; [unrolled: 1-line block ×4, first 2 shown]
	v_add_f64 v[50:51], v[10:11], v[0:1]
	v_add_f64 v[10:11], v[12:13], -v[10:11]
	v_add_f64 v[14:15], v[2:3], v[14:15]
	v_add_f64 v[4:5], v[6:7], -v[4:5]
	v_mul_f64 v[18:19], v[18:19], s[6:7]
	v_mul_f64 v[20:21], v[20:21], s[14:15]
	;; [unrolled: 1-line block ×4, first 2 shown]
	v_add_f64 v[12:13], v[50:51], v[12:13]
	ds_read2_b64 v[0:3], v102 offset1:154
	v_add_f64 v[55:56], v[16:17], v[14:15]
	v_fma_f64 v[16:17], v[48:49], s[4:5], v[18:19]
	v_fma_f64 v[48:49], v[10:11], s[22:23], v[20:21]
	v_fma_f64 v[20:21], v[46:47], s[8:9], -v[20:21]
	v_fma_f64 v[10:11], v[10:11], s[26:27], -v[52:53]
	;; [unrolled: 1-line block ×4, first 2 shown]
	v_fma_f64 v[14:15], v[14:15], s[16:17], v[55:56]
	v_add_u32_e32 v46, 0x800, v102
	v_add_u32_e32 v47, 0x1200, v102
	v_fma_f64 v[50:51], v[12:13], s[24:25], v[48:49]
	v_fma_f64 v[20:21], v[12:13], s[24:25], v[20:21]
	;; [unrolled: 1-line block ×3, first 2 shown]
	v_add_u32_e32 v48, 0x1c00, v102
	v_add_u32_e32 v49, 0x2400, v102
	v_add_f64 v[59:60], v[16:17], v[14:15]
	v_add_f64 v[18:19], v[18:19], v[14:15]
	;; [unrolled: 1-line block ×3, first 2 shown]
	ds_read2_b64 v[14:17], v46 offset0:52 offset1:206
	ds_read2_b64 v[10:13], v47 offset0:40 offset1:194
	;; [unrolled: 1-line block ×3, first 2 shown]
	v_add_f64 v[63:64], v[59:60], -v[50:51]
	v_add_f64 v[65:66], v[18:19], -v[52:53]
	v_add_f64 v[67:68], v[20:21], v[61:62]
	v_add_f64 v[61:62], v[61:62], -v[20:21]
	v_add_f64 v[52:53], v[52:53], v[18:19]
	v_add_f64 v[50:51], v[50:51], v[59:60]
	ds_read2_b64 v[18:21], v49 offset0:80 offset1:234
	s_waitcnt lgkmcnt(0)
	s_barrier
	ds_write2_b64 v74, v[55:56], v[63:64] offset1:22
	ds_write2_b64 v74, v[65:66], v[67:68] offset0:44 offset1:66
	ds_write2_b64 v74, v[61:62], v[52:53] offset0:88 offset1:110
	ds_write_b64 v74, v[50:51] offset:1056
	s_and_saveexec_b64 s[4:5], vcc
	s_cbranch_execz .LBB0_23
; %bb.22:
	v_add_f64 v[28:29], v[28:29], v[44:45]
	v_add_f64 v[32:33], v[32:33], v[38:39]
	v_add_f64 v[22:23], v[24:25], -v[22:23]
	v_add_f64 v[24:25], v[34:35], v[36:37]
	v_add_f64 v[30:31], v[40:41], -v[30:31]
	v_add_f64 v[26:27], v[26:27], -v[42:43]
	s_mov_b32 s8, 0x36b3c0b5
	s_mov_b32 s9, 0x3fac98ee
	;; [unrolled: 1-line block ×3, first 2 shown]
	v_add_f64 v[34:35], v[32:33], v[28:29]
	s_mov_b32 s17, 0x3febfeb5
	v_add_f64 v[36:37], v[28:29], -v[24:25]
	v_add_f64 v[38:39], v[30:31], v[22:23]
	v_add_f64 v[40:41], v[30:31], -v[22:23]
	v_add_f64 v[22:23], v[22:23], -v[26:27]
	;; [unrolled: 1-line block ×4, first 2 shown]
	v_add_f64 v[34:35], v[24:25], v[34:35]
	v_add_f64 v[24:25], v[24:25], -v[32:33]
	v_mul_f64 v[36:37], v[36:37], s[6:7]
	v_add_f64 v[26:27], v[38:39], v[26:27]
	v_mul_f64 v[38:39], v[40:41], s[14:15]
	v_mul_f64 v[40:41], v[22:23], s[16:17]
	s_mov_b32 s7, 0x3fe77f67
	s_mov_b32 s6, 0x5476071b
	v_add_f64 v[8:9], v[8:9], v[34:35]
	v_mul_f64 v[32:33], v[24:25], s[8:9]
	s_mov_b32 s18, 0xaaaaaaaa
	s_mov_b32 s19, 0xbff2aaaa
	v_fma_f64 v[24:25], v[24:25], s[8:9], v[36:37]
	v_fma_f64 v[22:23], v[22:23], s[16:17], -v[38:39]
	v_fma_f64 v[34:35], v[34:35], s[18:19], v[8:9]
	v_fma_f64 v[32:33], v[28:29], s[6:7], -v[32:33]
	s_mov_b32 s7, 0xbfe77f67
	v_fma_f64 v[28:29], v[28:29], s[6:7], -v[36:37]
	s_mov_b32 s7, 0x3fd5d0dc
	s_mov_b32 s6, 0xb247c609
	v_fma_f64 v[36:37], v[30:31], s[6:7], v[38:39]
	s_mov_b32 s7, 0xbfd5d0dc
	v_fma_f64 v[30:31], v[30:31], s[6:7], -v[40:41]
	s_mov_b32 s6, 0x37c3f68c
	s_mov_b32 s7, 0x3fdc38aa
	v_add_f64 v[24:25], v[24:25], v[34:35]
	v_add_f64 v[32:33], v[32:33], v[34:35]
	;; [unrolled: 1-line block ×3, first 2 shown]
	v_fma_f64 v[34:35], v[26:27], s[6:7], v[36:37]
	v_fma_f64 v[22:23], v[26:27], s[6:7], v[22:23]
	;; [unrolled: 1-line block ×3, first 2 shown]
	v_add_f64 v[26:27], v[24:25], -v[34:35]
	v_add_f64 v[38:39], v[22:23], v[32:33]
	v_add_f64 v[36:37], v[28:29], -v[30:31]
	v_add_f64 v[22:23], v[32:33], -v[22:23]
	v_add_f64 v[28:29], v[30:31], v[28:29]
	v_add_f64 v[24:25], v[34:35], v[24:25]
	v_and_b32_e32 v30, 0x7f, v73
	v_mul_lo_u16_e32 v30, 0xbb, v30
	v_lshrrev_b16_e32 v30, 11, v30
	v_mul_u32_u24_e32 v30, 0x4d0, v30
	v_add3_u32 v30, 0, v30, v54
	ds_write2_b64 v30, v[8:9], v[26:27] offset1:22
	ds_write2_b64 v30, v[36:37], v[38:39] offset0:44 offset1:66
	ds_write2_b64 v30, v[22:23], v[28:29] offset0:88 offset1:110
	ds_write_b64 v30, v[24:25] offset:1056
.LBB0_23:
	s_or_b64 exec, exec, s[4:5]
	v_lshlrev_b32_e32 v22, 2, v96
	v_mov_b32_e32 v23, 0
	v_lshlrev_b64 v[8:9], 4, v[22:23]
	v_mov_b32_e32 v22, s13
	v_add_co_u32_e32 v8, vcc, s12, v8
	v_addc_co_u32_e32 v9, vcc, v22, v9, vcc
	s_waitcnt lgkmcnt(0)
	s_barrier
	global_load_dwordx4 v[24:27], v[8:9], off offset:2288
	global_load_dwordx4 v[28:31], v[8:9], off offset:2304
	;; [unrolled: 1-line block ×4, first 2 shown]
	ds_read2_b64 v[40:43], v102 offset1:154
	ds_read2_b64 v[50:53], v46 offset0:52 offset1:206
	ds_read2_b64 v[54:57], v47 offset0:40 offset1:194
	;; [unrolled: 1-line block ×4, first 2 shown]
	s_mov_b32 s8, 0x134454ff
	s_mov_b32 s9, 0x3fee6f0e
	;; [unrolled: 1-line block ×10, first 2 shown]
	s_waitcnt vmcnt(0) lgkmcnt(0)
	s_barrier
	v_mul_f64 v[8:9], v[50:51], v[26:27]
	v_mul_f64 v[44:45], v[14:15], v[26:27]
	;; [unrolled: 1-line block ×16, first 2 shown]
	v_fma_f64 v[8:9], v[14:15], v[24:25], -v[8:9]
	v_fma_f64 v[14:15], v[50:51], v[24:25], v[44:45]
	v_fma_f64 v[10:11], v[10:11], v[28:29], -v[67:68]
	v_fma_f64 v[44:45], v[54:55], v[28:29], v[69:70]
	;; [unrolled: 2-line block ×7, first 2 shown]
	v_fma_f64 v[30:31], v[65:66], v[36:37], v[38:39]
	v_add_f64 v[32:33], v[0:1], v[8:9]
	v_add_f64 v[34:35], v[10:11], v[4:5]
	v_add_f64 v[52:53], v[8:9], -v[10:11]
	v_add_f64 v[56:57], v[18:19], -v[4:5]
	v_add_f64 v[59:60], v[8:9], v[18:19]
	v_add_f64 v[65:66], v[40:41], v[14:15]
	;; [unrolled: 1-line block ×4, first 2 shown]
	v_fma_f64 v[20:21], v[20:21], v[36:37], -v[85:86]
	v_add_f64 v[36:37], v[14:15], -v[54:55]
	v_add_f64 v[38:39], v[44:45], -v[50:51]
	;; [unrolled: 1-line block ×9, first 2 shown]
	v_add_f64 v[81:82], v[12:13], v[6:7]
	v_add_f64 v[10:11], v[32:33], v[10:11]
	v_fma_f64 v[32:33], v[34:35], -0.5, v[0:1]
	v_add_f64 v[34:35], v[52:53], v[56:57]
	v_fma_f64 v[0:1], v[59:60], -0.5, v[0:1]
	;; [unrolled: 2-line block ×3, first 2 shown]
	v_fma_f64 v[40:41], v[75:76], -0.5, v[40:41]
	v_add_f64 v[77:78], v[50:51], -v[54:55]
	v_add_f64 v[79:80], v[2:3], v[16:17]
	v_add_f64 v[83:84], v[24:25], -v[30:31]
	v_add_f64 v[52:53], v[61:62], v[63:64]
	v_add_f64 v[59:60], v[71:72], v[73:74]
	v_fma_f64 v[63:64], v[81:82], -0.5, v[2:3]
	v_add_f64 v[4:5], v[10:11], v[4:5]
	v_fma_f64 v[10:11], v[36:37], s[8:9], v[32:33]
	v_fma_f64 v[32:33], v[36:37], s[16:17], v[32:33]
	;; [unrolled: 1-line block ×4, first 2 shown]
	v_add_f64 v[44:45], v[44:45], v[50:51]
	v_fma_f64 v[50:51], v[8:9], s[16:17], v[56:57]
	v_fma_f64 v[56:57], v[8:9], s[8:9], v[56:57]
	;; [unrolled: 1-line block ×4, first 2 shown]
	v_add_f64 v[85:86], v[26:27], -v[28:29]
	v_add_f64 v[87:88], v[16:17], -v[12:13]
	;; [unrolled: 1-line block ×3, first 2 shown]
	v_add_f64 v[103:104], v[16:17], v[20:21]
	v_add_f64 v[14:15], v[14:15], v[77:78]
	v_add_f64 v[61:62], v[79:80], v[12:13]
	v_fma_f64 v[73:74], v[83:84], s[8:9], v[63:64]
	v_add_f64 v[4:5], v[4:5], v[18:19]
	v_fma_f64 v[10:11], v[38:39], s[4:5], v[10:11]
	v_fma_f64 v[18:19], v[38:39], s[14:15], v[32:33]
	;; [unrolled: 1-line block ×4, first 2 shown]
	v_add_f64 v[36:37], v[44:45], v[54:55]
	v_fma_f64 v[38:39], v[69:70], s[14:15], v[50:51]
	v_fma_f64 v[44:45], v[69:70], s[4:5], v[56:57]
	v_fma_f64 v[50:51], v[8:9], s[14:15], v[71:72]
	v_fma_f64 v[8:9], v[8:9], s[4:5], v[40:41]
	v_add_f64 v[65:66], v[87:88], v[89:90]
	v_fma_f64 v[2:3], v[103:104], -0.5, v[2:3]
	v_add_f64 v[61:62], v[61:62], v[6:7]
	v_fma_f64 v[54:55], v[85:86], s[4:5], v[73:74]
	v_fma_f64 v[10:11], v[34:35], s[6:7], v[10:11]
	;; [unrolled: 1-line block ×7, first 2 shown]
	v_add_f64 v[8:9], v[26:27], v[28:29]
	v_add_f64 v[59:60], v[24:25], v[30:31]
	;; [unrolled: 1-line block ×3, first 2 shown]
	v_fma_f64 v[32:33], v[52:53], s[6:7], v[32:33]
	v_fma_f64 v[0:1], v[52:53], s[6:7], v[0:1]
	;; [unrolled: 1-line block ×5, first 2 shown]
	v_add_f64 v[56:57], v[12:13], -v[16:17]
	v_add_f64 v[61:62], v[6:7], -v[20:21]
	v_add_f64 v[63:64], v[42:43], v[24:25]
	v_fma_f64 v[8:9], v[8:9], -0.5, v[42:43]
	v_add_f64 v[16:17], v[16:17], -v[20:21]
	v_add_f64 v[6:7], v[12:13], -v[6:7]
	v_fma_f64 v[12:13], v[59:60], -0.5, v[42:43]
	v_fma_f64 v[2:3], v[85:86], s[8:9], v[2:3]
	v_fma_f64 v[20:21], v[85:86], s[14:15], v[52:53]
	;; [unrolled: 1-line block ×3, first 2 shown]
	v_add_f64 v[42:43], v[56:57], v[61:62]
	v_add_f64 v[54:55], v[63:64], v[26:27]
	v_fma_f64 v[56:57], v[16:17], s[16:17], v[8:9]
	v_add_f64 v[59:60], v[24:25], -v[26:27]
	v_add_f64 v[61:62], v[30:31], -v[28:29]
	v_fma_f64 v[8:9], v[16:17], s[8:9], v[8:9]
	v_fma_f64 v[63:64], v[6:7], s[8:9], v[12:13]
	v_add_f64 v[24:25], v[26:27], -v[24:25]
	v_add_f64 v[26:27], v[28:29], -v[30:31]
	v_fma_f64 v[12:13], v[6:7], s[16:17], v[12:13]
	v_fma_f64 v[2:3], v[83:84], s[14:15], v[2:3]
	v_add_f64 v[28:29], v[54:55], v[28:29]
	v_fma_f64 v[54:55], v[6:7], s[14:15], v[56:57]
	v_add_f64 v[56:57], v[59:60], v[61:62]
	v_fma_f64 v[6:7], v[6:7], s[4:5], v[8:9]
	v_fma_f64 v[8:9], v[16:17], s[14:15], v[63:64]
	v_add_f64 v[24:25], v[24:25], v[26:27]
	v_fma_f64 v[12:13], v[16:17], s[4:5], v[12:13]
	v_fma_f64 v[16:17], v[65:66], s[6:7], v[20:21]
	;; [unrolled: 1-line block ×4, first 2 shown]
	v_add_f64 v[26:27], v[28:29], v[30:31]
	v_fma_f64 v[30:31], v[56:57], s[6:7], v[6:7]
	ds_write2_b64 v102, v[4:5], v[10:11] offset1:154
	ds_write2_b64 v46, v[32:33], v[0:1] offset0:52 offset1:206
	ds_write2_b64 v47, v[18:19], v[40:41] offset0:40 offset1:194
	;; [unrolled: 1-line block ×4, first 2 shown]
	v_fma_f64 v[42:43], v[24:25], s[6:7], v[8:9]
	v_fma_f64 v[24:25], v[24:25], s[6:7], v[12:13]
	s_waitcnt lgkmcnt(0)
	s_barrier
	ds_read2_b64 v[8:11], v102 offset1:154
	ds_read2_b64 v[4:7], v47 offset0:40 offset1:194
	ds_read2_b64 v[16:19], v48 offset0:28 offset1:182
	;; [unrolled: 1-line block ×4, first 2 shown]
	v_fma_f64 v[28:29], v[56:57], s[6:7], v[54:55]
	s_waitcnt lgkmcnt(0)
	s_barrier
	ds_write2_b64 v102, v[36:37], v[34:35] offset1:154
	ds_write2_b64 v46, v[44:45], v[50:51] offset0:52 offset1:206
	ds_write2_b64 v47, v[38:39], v[26:27] offset0:40 offset1:194
	;; [unrolled: 1-line block ×4, first 2 shown]
	s_waitcnt lgkmcnt(0)
	s_barrier
	s_and_saveexec_b64 s[4:5], s[0:1]
	s_cbranch_execz .LBB0_25
; %bb.24:
	v_mov_b32_e32 v59, v23
	v_lshlrev_b64 v[20:21], 4, v[58:59]
	v_mov_b32_e32 v22, s13
	v_add_co_u32_e32 v20, vcc, s12, v20
	v_addc_co_u32_e32 v21, vcc, v22, v21, vcc
	v_add_co_u32_e32 v20, vcc, 0x2000, v20
	v_addc_co_u32_e32 v21, vcc, 0, v21, vcc
	v_mov_b32_e32 v99, v23
	global_load_dwordx4 v[24:27], v[20:21], off offset:3952
	v_lshlrev_b64 v[20:21], 4, v[98:99]
	v_mov_b32_e32 v101, v23
	v_add_co_u32_e32 v40, vcc, s12, v20
	v_addc_co_u32_e32 v41, vcc, v22, v21, vcc
	v_lshlrev_b64 v[20:21], 4, v[100:101]
	s_movk_i32 s1, 0x2000
	v_add_co_u32_e32 v20, vcc, s12, v20
	v_addc_co_u32_e32 v21, vcc, v22, v21, vcc
	v_mov_b32_e32 v97, v23
	v_add_co_u32_e32 v20, vcc, s1, v20
	v_lshlrev_b64 v[56:57], 4, v[96:97]
	v_addc_co_u32_e32 v21, vcc, 0, v21, vcc
	v_add_co_u32_e32 v38, vcc, s12, v56
	v_addc_co_u32_e32 v22, vcc, v22, v57, vcc
	s_movk_i32 s0, 0x3000
	v_add_co_u32_e32 v36, vcc, s0, v38
	v_addc_co_u32_e32 v37, vcc, 0, v22, vcc
	global_load_dwordx4 v[28:31], v[20:21], off offset:3952
	global_load_dwordx4 v[32:35], v[36:37], off offset:2320
	v_add_co_u32_e32 v20, vcc, s1, v38
	v_addc_co_u32_e32 v21, vcc, 0, v22, vcc
	global_load_dwordx4 v[36:39], v[20:21], off offset:3952
	v_add_co_u32_e32 v20, vcc, s1, v40
	v_addc_co_u32_e32 v21, vcc, 0, v41, vcc
	global_load_dwordx4 v[40:43], v[20:21], off offset:3952
	v_add_u32_e32 v48, 0x1200, v102
	v_add_u32_e32 v52, 0x2400, v102
	;; [unrolled: 1-line block ×4, first 2 shown]
	v_mul_lo_u32 v22, s3, v94
	v_mul_lo_u32 v67, s2, v95
	v_mad_u64_u32 v[20:21], s[2:3], s2, v94, 0
	ds_read2_b64 v[44:47], v102 offset1:154
	ds_read2_b64 v[48:51], v48 offset0:40 offset1:194
	ds_read2_b64 v[52:55], v52 offset0:80 offset1:234
	;; [unrolled: 1-line block ×4, first 2 shown]
	v_add3_u32 v21, v21, v67, v22
	v_lshlrev_b64 v[20:21], 4, v[20:21]
	v_mov_b32_e32 v77, s11
	s_mov_b32 s1, 0x551c979b
	s_movk_i32 s2, 0x302
	s_waitcnt vmcnt(4)
	v_mul_f64 v[73:74], v[14:15], v[26:27]
	s_waitcnt lgkmcnt(2)
	v_mul_f64 v[26:27], v[54:55], v[26:27]
	s_waitcnt vmcnt(3)
	v_mul_f64 v[67:68], v[18:19], v[30:31]
	s_waitcnt lgkmcnt(1)
	v_mul_f64 v[30:31], v[61:62], v[30:31]
	s_waitcnt vmcnt(2)
	v_mul_f64 v[69:70], v[16:17], v[34:35]
	v_mul_f64 v[34:35], v[59:60], v[34:35]
	s_waitcnt vmcnt(1)
	v_mul_f64 v[71:72], v[6:7], v[38:39]
	v_mul_f64 v[38:39], v[50:51], v[38:39]
	v_fma_f64 v[61:62], v[61:62], v[28:29], v[67:68]
	v_fma_f64 v[18:19], v[18:19], v[28:29], -v[30:31]
	v_fma_f64 v[28:29], v[59:60], v[32:33], v[69:70]
	s_waitcnt vmcnt(0)
	v_mul_f64 v[75:76], v[12:13], v[42:43]
	v_mul_f64 v[42:43], v[52:53], v[42:43]
	v_fma_f64 v[16:17], v[16:17], v[32:33], -v[34:35]
	v_fma_f64 v[30:31], v[50:51], v[36:37], v[71:72]
	v_fma_f64 v[6:7], v[6:7], v[36:37], -v[38:39]
	v_fma_f64 v[32:33], v[54:55], v[24:25], v[73:74]
	v_fma_f64 v[34:35], v[14:15], v[24:25], -v[26:27]
	s_waitcnt lgkmcnt(0)
	v_add_f64 v[14:15], v[63:64], -v[61:62]
	v_fma_f64 v[36:37], v[52:53], v[40:41], v[75:76]
	v_fma_f64 v[38:39], v[12:13], v[40:41], -v[42:43]
	v_add_f64 v[16:17], v[10:11], -v[16:17]
	v_add_f64 v[26:27], v[44:45], -v[30:31]
	;; [unrolled: 1-line block ×8, first 2 shown]
	v_fma_f64 v[40:41], v[10:11], 2.0, -v[16:17]
	v_fma_f64 v[10:11], v[44:45], 2.0, -v[26:27]
	;; [unrolled: 1-line block ×3, first 2 shown]
	v_add_f64 v[34:35], v[65:66], -v[36:37]
	v_fma_f64 v[36:37], v[0:1], 2.0, -v[12:13]
	v_lshlrev_b64 v[0:1], 4, v[92:93]
	v_fma_f64 v[42:43], v[46:47], 2.0, -v[18:19]
	v_fma_f64 v[44:45], v[2:3], 2.0, -v[32:33]
	v_add_co_u32_e32 v2, vcc, s10, v20
	v_addc_co_u32_e32 v3, vcc, v77, v21, vcc
	v_add_co_u32_e32 v20, vcc, v2, v0
	v_addc_co_u32_e32 v21, vcc, v3, v1, vcc
	;; [unrolled: 2-line block ×3, first 2 shown]
	global_store_dwordx4 v[0:1], v[8:11], off
	v_fma_f64 v[38:39], v[63:64], 2.0, -v[14:15]
	v_mul_hi_u32 v8, v100, s1
	v_add_co_u32_e32 v2, vcc, s0, v0
	v_addc_co_u32_e32 v3, vcc, 0, v1, vcc
	global_store_dwordx4 v[2:3], v[24:27], off offset:32
	global_store_dwordx4 v[0:1], v[40:43], off offset:2464
	;; [unrolled: 1-line block ×3, first 2 shown]
	v_lshrrev_b32_e32 v0, 8, v8
	v_mad_u32_u24 v22, v0, s2, v100
	v_lshlrev_b64 v[0:1], 4, v[22:23]
	v_mul_hi_u32 v2, v98, s1
	v_add_co_u32_e32 v0, vcc, v20, v0
	v_addc_co_u32_e32 v1, vcc, v21, v1, vcc
	v_fma_f64 v[46:47], v[65:66], 2.0, -v[34:35]
	global_store_dwordx4 v[0:1], v[36:39], off
	v_add_co_u32_e32 v0, vcc, s0, v0
	v_addc_co_u32_e32 v1, vcc, 0, v1, vcc
	global_store_dwordx4 v[0:1], v[12:15], off offset:32
	v_lshrrev_b32_e32 v0, 8, v2
	v_mad_u32_u24 v22, v0, s2, v98
	v_lshlrev_b64 v[0:1], 4, v[22:23]
	v_mul_hi_u32 v2, v58, s1
	v_add_co_u32_e32 v0, vcc, v20, v0
	v_addc_co_u32_e32 v1, vcc, v21, v1, vcc
	v_fma_f64 v[6:7], v[48:49], 2.0, -v[30:31]
	v_fma_f64 v[4:5], v[4:5], 2.0, -v[28:29]
	global_store_dwordx4 v[0:1], v[44:47], off
	v_add_co_u32_e32 v0, vcc, s0, v0
	v_addc_co_u32_e32 v1, vcc, 0, v1, vcc
	global_store_dwordx4 v[0:1], v[32:35], off offset:32
	v_lshrrev_b32_e32 v0, 8, v2
	v_mad_u32_u24 v22, v0, s2, v58
	v_lshlrev_b64 v[0:1], 4, v[22:23]
	v_add_co_u32_e32 v0, vcc, v20, v0
	v_addc_co_u32_e32 v1, vcc, v21, v1, vcc
	global_store_dwordx4 v[0:1], v[4:7], off
	v_add_co_u32_e32 v0, vcc, 0x3000, v0
	v_addc_co_u32_e32 v1, vcc, 0, v1, vcc
	global_store_dwordx4 v[0:1], v[28:31], off offset:32
.LBB0_25:
	s_endpgm
	.section	.rodata,"a",@progbits
	.p2align	6, 0x0
	.amdhsa_kernel fft_rtc_fwd_len1540_factors_11_2_7_5_2_wgs_154_tpt_154_halfLds_dp_op_CI_CI_unitstride_sbrr_dirReg
		.amdhsa_group_segment_fixed_size 0
		.amdhsa_private_segment_fixed_size 0
		.amdhsa_kernarg_size 104
		.amdhsa_user_sgpr_count 6
		.amdhsa_user_sgpr_private_segment_buffer 1
		.amdhsa_user_sgpr_dispatch_ptr 0
		.amdhsa_user_sgpr_queue_ptr 0
		.amdhsa_user_sgpr_kernarg_segment_ptr 1
		.amdhsa_user_sgpr_dispatch_id 0
		.amdhsa_user_sgpr_flat_scratch_init 0
		.amdhsa_user_sgpr_private_segment_size 0
		.amdhsa_uses_dynamic_stack 0
		.amdhsa_system_sgpr_private_segment_wavefront_offset 0
		.amdhsa_system_sgpr_workgroup_id_x 1
		.amdhsa_system_sgpr_workgroup_id_y 0
		.amdhsa_system_sgpr_workgroup_id_z 0
		.amdhsa_system_sgpr_workgroup_info 0
		.amdhsa_system_vgpr_workitem_id 0
		.amdhsa_next_free_vgpr 127
		.amdhsa_next_free_sgpr 42
		.amdhsa_reserve_vcc 1
		.amdhsa_reserve_flat_scratch 0
		.amdhsa_float_round_mode_32 0
		.amdhsa_float_round_mode_16_64 0
		.amdhsa_float_denorm_mode_32 3
		.amdhsa_float_denorm_mode_16_64 3
		.amdhsa_dx10_clamp 1
		.amdhsa_ieee_mode 1
		.amdhsa_fp16_overflow 0
		.amdhsa_exception_fp_ieee_invalid_op 0
		.amdhsa_exception_fp_denorm_src 0
		.amdhsa_exception_fp_ieee_div_zero 0
		.amdhsa_exception_fp_ieee_overflow 0
		.amdhsa_exception_fp_ieee_underflow 0
		.amdhsa_exception_fp_ieee_inexact 0
		.amdhsa_exception_int_div_zero 0
	.end_amdhsa_kernel
	.text
.Lfunc_end0:
	.size	fft_rtc_fwd_len1540_factors_11_2_7_5_2_wgs_154_tpt_154_halfLds_dp_op_CI_CI_unitstride_sbrr_dirReg, .Lfunc_end0-fft_rtc_fwd_len1540_factors_11_2_7_5_2_wgs_154_tpt_154_halfLds_dp_op_CI_CI_unitstride_sbrr_dirReg
                                        ; -- End function
	.section	.AMDGPU.csdata,"",@progbits
; Kernel info:
; codeLenInByte = 10400
; NumSgprs: 46
; NumVgprs: 127
; ScratchSize: 0
; MemoryBound: 1
; FloatMode: 240
; IeeeMode: 1
; LDSByteSize: 0 bytes/workgroup (compile time only)
; SGPRBlocks: 5
; VGPRBlocks: 31
; NumSGPRsForWavesPerEU: 46
; NumVGPRsForWavesPerEU: 127
; Occupancy: 2
; WaveLimiterHint : 1
; COMPUTE_PGM_RSRC2:SCRATCH_EN: 0
; COMPUTE_PGM_RSRC2:USER_SGPR: 6
; COMPUTE_PGM_RSRC2:TRAP_HANDLER: 0
; COMPUTE_PGM_RSRC2:TGID_X_EN: 1
; COMPUTE_PGM_RSRC2:TGID_Y_EN: 0
; COMPUTE_PGM_RSRC2:TGID_Z_EN: 0
; COMPUTE_PGM_RSRC2:TIDIG_COMP_CNT: 0
	.type	__hip_cuid_ca6ef7cf3323ba7d,@object ; @__hip_cuid_ca6ef7cf3323ba7d
	.section	.bss,"aw",@nobits
	.globl	__hip_cuid_ca6ef7cf3323ba7d
__hip_cuid_ca6ef7cf3323ba7d:
	.byte	0                               ; 0x0
	.size	__hip_cuid_ca6ef7cf3323ba7d, 1

	.ident	"AMD clang version 19.0.0git (https://github.com/RadeonOpenCompute/llvm-project roc-6.4.0 25133 c7fe45cf4b819c5991fe208aaa96edf142730f1d)"
	.section	".note.GNU-stack","",@progbits
	.addrsig
	.addrsig_sym __hip_cuid_ca6ef7cf3323ba7d
	.amdgpu_metadata
---
amdhsa.kernels:
  - .args:
      - .actual_access:  read_only
        .address_space:  global
        .offset:         0
        .size:           8
        .value_kind:     global_buffer
      - .offset:         8
        .size:           8
        .value_kind:     by_value
      - .actual_access:  read_only
        .address_space:  global
        .offset:         16
        .size:           8
        .value_kind:     global_buffer
      - .actual_access:  read_only
        .address_space:  global
        .offset:         24
        .size:           8
        .value_kind:     global_buffer
      - .actual_access:  read_only
        .address_space:  global
        .offset:         32
        .size:           8
        .value_kind:     global_buffer
      - .offset:         40
        .size:           8
        .value_kind:     by_value
      - .actual_access:  read_only
        .address_space:  global
        .offset:         48
        .size:           8
        .value_kind:     global_buffer
      - .actual_access:  read_only
        .address_space:  global
        .offset:         56
        .size:           8
        .value_kind:     global_buffer
      - .offset:         64
        .size:           4
        .value_kind:     by_value
      - .actual_access:  read_only
        .address_space:  global
        .offset:         72
        .size:           8
        .value_kind:     global_buffer
      - .actual_access:  read_only
        .address_space:  global
        .offset:         80
        .size:           8
        .value_kind:     global_buffer
      - .actual_access:  read_only
        .address_space:  global
        .offset:         88
        .size:           8
        .value_kind:     global_buffer
      - .actual_access:  write_only
        .address_space:  global
        .offset:         96
        .size:           8
        .value_kind:     global_buffer
    .group_segment_fixed_size: 0
    .kernarg_segment_align: 8
    .kernarg_segment_size: 104
    .language:       OpenCL C
    .language_version:
      - 2
      - 0
    .max_flat_workgroup_size: 154
    .name:           fft_rtc_fwd_len1540_factors_11_2_7_5_2_wgs_154_tpt_154_halfLds_dp_op_CI_CI_unitstride_sbrr_dirReg
    .private_segment_fixed_size: 0
    .sgpr_count:     46
    .sgpr_spill_count: 0
    .symbol:         fft_rtc_fwd_len1540_factors_11_2_7_5_2_wgs_154_tpt_154_halfLds_dp_op_CI_CI_unitstride_sbrr_dirReg.kd
    .uniform_work_group_size: 1
    .uses_dynamic_stack: false
    .vgpr_count:     127
    .vgpr_spill_count: 0
    .wavefront_size: 64
amdhsa.target:   amdgcn-amd-amdhsa--gfx906
amdhsa.version:
  - 1
  - 2
...

	.end_amdgpu_metadata
